;; amdgpu-corpus repo=ROCm/rocFFT kind=compiled arch=gfx906 opt=O3
	.text
	.amdgcn_target "amdgcn-amd-amdhsa--gfx906"
	.amdhsa_code_object_version 6
	.protected	fft_rtc_back_len1944_factors_3_3_3_3_8_3_wgs_243_tpt_243_halfLds_sp_op_CI_CI_unitstride_sbrr_R2C_dirReg ; -- Begin function fft_rtc_back_len1944_factors_3_3_3_3_8_3_wgs_243_tpt_243_halfLds_sp_op_CI_CI_unitstride_sbrr_R2C_dirReg
	.globl	fft_rtc_back_len1944_factors_3_3_3_3_8_3_wgs_243_tpt_243_halfLds_sp_op_CI_CI_unitstride_sbrr_R2C_dirReg
	.p2align	8
	.type	fft_rtc_back_len1944_factors_3_3_3_3_8_3_wgs_243_tpt_243_halfLds_sp_op_CI_CI_unitstride_sbrr_R2C_dirReg,@function
fft_rtc_back_len1944_factors_3_3_3_3_8_3_wgs_243_tpt_243_halfLds_sp_op_CI_CI_unitstride_sbrr_R2C_dirReg: ; @fft_rtc_back_len1944_factors_3_3_3_3_8_3_wgs_243_tpt_243_halfLds_sp_op_CI_CI_unitstride_sbrr_R2C_dirReg
; %bb.0:
	s_load_dwordx4 s[8:11], s[4:5], 0x58
	s_load_dwordx4 s[12:15], s[4:5], 0x0
	;; [unrolled: 1-line block ×3, first 2 shown]
	v_mul_u32_u24_e32 v1, 0x10e, v0
	v_add_u32_sdwa v5, s6, v1 dst_sel:DWORD dst_unused:UNUSED_PAD src0_sel:DWORD src1_sel:WORD_1
	v_mov_b32_e32 v3, 0
	s_waitcnt lgkmcnt(0)
	v_cmp_lt_u64_e64 s[0:1], s[14:15], 2
	v_mov_b32_e32 v1, 0
	v_mov_b32_e32 v6, v3
	s_and_b64 vcc, exec, s[0:1]
	v_mov_b32_e32 v2, 0
	s_cbranch_vccnz .LBB0_8
; %bb.1:
	s_load_dwordx2 s[0:1], s[4:5], 0x10
	s_add_u32 s2, s18, 8
	s_addc_u32 s3, s19, 0
	s_add_u32 s6, s16, 8
	v_mov_b32_e32 v1, 0
	s_addc_u32 s7, s17, 0
	v_mov_b32_e32 v2, 0
	s_waitcnt lgkmcnt(0)
	s_add_u32 s20, s0, 8
	v_mov_b32_e32 v11, v2
	s_addc_u32 s21, s1, 0
	s_mov_b64 s[22:23], 1
	v_mov_b32_e32 v10, v1
.LBB0_2:                                ; =>This Inner Loop Header: Depth=1
	s_load_dwordx2 s[24:25], s[20:21], 0x0
                                        ; implicit-def: $vgpr12_vgpr13
	s_waitcnt lgkmcnt(0)
	v_or_b32_e32 v4, s25, v6
	v_cmp_ne_u64_e32 vcc, 0, v[3:4]
	s_and_saveexec_b64 s[0:1], vcc
	s_xor_b64 s[26:27], exec, s[0:1]
	s_cbranch_execz .LBB0_4
; %bb.3:                                ;   in Loop: Header=BB0_2 Depth=1
	v_cvt_f32_u32_e32 v4, s24
	v_cvt_f32_u32_e32 v7, s25
	s_sub_u32 s0, 0, s24
	s_subb_u32 s1, 0, s25
	v_mac_f32_e32 v4, 0x4f800000, v7
	v_rcp_f32_e32 v4, v4
	v_mul_f32_e32 v4, 0x5f7ffffc, v4
	v_mul_f32_e32 v7, 0x2f800000, v4
	v_trunc_f32_e32 v7, v7
	v_mac_f32_e32 v4, 0xcf800000, v7
	v_cvt_u32_f32_e32 v7, v7
	v_cvt_u32_f32_e32 v4, v4
	v_mul_lo_u32 v8, s0, v7
	v_mul_hi_u32 v9, s0, v4
	v_mul_lo_u32 v13, s1, v4
	v_mul_lo_u32 v12, s0, v4
	v_add_u32_e32 v8, v9, v8
	v_add_u32_e32 v8, v8, v13
	v_mul_hi_u32 v9, v4, v12
	v_mul_lo_u32 v13, v4, v8
	v_mul_hi_u32 v15, v4, v8
	v_mul_hi_u32 v14, v7, v12
	v_mul_lo_u32 v12, v7, v12
	v_mul_hi_u32 v16, v7, v8
	v_add_co_u32_e32 v9, vcc, v9, v13
	v_addc_co_u32_e32 v13, vcc, 0, v15, vcc
	v_mul_lo_u32 v8, v7, v8
	v_add_co_u32_e32 v9, vcc, v9, v12
	v_addc_co_u32_e32 v9, vcc, v13, v14, vcc
	v_addc_co_u32_e32 v12, vcc, 0, v16, vcc
	v_add_co_u32_e32 v8, vcc, v9, v8
	v_addc_co_u32_e32 v9, vcc, 0, v12, vcc
	v_add_co_u32_e32 v4, vcc, v4, v8
	v_addc_co_u32_e32 v7, vcc, v7, v9, vcc
	v_mul_lo_u32 v8, s0, v7
	v_mul_hi_u32 v9, s0, v4
	v_mul_lo_u32 v12, s1, v4
	v_mul_lo_u32 v13, s0, v4
	v_add_u32_e32 v8, v9, v8
	v_add_u32_e32 v8, v8, v12
	v_mul_lo_u32 v14, v4, v8
	v_mul_hi_u32 v15, v4, v13
	v_mul_hi_u32 v16, v4, v8
	v_mul_hi_u32 v12, v7, v13
	v_mul_lo_u32 v13, v7, v13
	v_mul_hi_u32 v9, v7, v8
	v_add_co_u32_e32 v14, vcc, v15, v14
	v_addc_co_u32_e32 v15, vcc, 0, v16, vcc
	v_mul_lo_u32 v8, v7, v8
	v_add_co_u32_e32 v13, vcc, v14, v13
	v_addc_co_u32_e32 v12, vcc, v15, v12, vcc
	v_addc_co_u32_e32 v9, vcc, 0, v9, vcc
	v_add_co_u32_e32 v8, vcc, v12, v8
	v_addc_co_u32_e32 v9, vcc, 0, v9, vcc
	v_add_co_u32_e32 v4, vcc, v4, v8
	v_addc_co_u32_e32 v9, vcc, v7, v9, vcc
	v_mad_u64_u32 v[7:8], s[0:1], v5, v9, 0
	v_mul_hi_u32 v12, v5, v4
	v_add_co_u32_e32 v14, vcc, v12, v7
	v_addc_co_u32_e32 v15, vcc, 0, v8, vcc
	v_mad_u64_u32 v[7:8], s[0:1], v6, v4, 0
	v_mad_u64_u32 v[12:13], s[0:1], v6, v9, 0
	v_add_co_u32_e32 v4, vcc, v14, v7
	v_addc_co_u32_e32 v4, vcc, v15, v8, vcc
	v_addc_co_u32_e32 v7, vcc, 0, v13, vcc
	v_add_co_u32_e32 v4, vcc, v4, v12
	v_addc_co_u32_e32 v9, vcc, 0, v7, vcc
	v_mul_lo_u32 v12, s25, v4
	v_mul_lo_u32 v13, s24, v9
	v_mad_u64_u32 v[7:8], s[0:1], s24, v4, 0
	v_add3_u32 v8, v8, v13, v12
	v_sub_u32_e32 v12, v6, v8
	v_mov_b32_e32 v13, s25
	v_sub_co_u32_e32 v7, vcc, v5, v7
	v_subb_co_u32_e64 v12, s[0:1], v12, v13, vcc
	v_subrev_co_u32_e64 v13, s[0:1], s24, v7
	v_subbrev_co_u32_e64 v12, s[0:1], 0, v12, s[0:1]
	v_cmp_le_u32_e64 s[0:1], s25, v12
	v_cndmask_b32_e64 v14, 0, -1, s[0:1]
	v_cmp_le_u32_e64 s[0:1], s24, v13
	v_cndmask_b32_e64 v13, 0, -1, s[0:1]
	v_cmp_eq_u32_e64 s[0:1], s25, v12
	v_cndmask_b32_e64 v12, v14, v13, s[0:1]
	v_add_co_u32_e64 v14, s[0:1], 2, v4
	v_addc_co_u32_e64 v13, s[0:1], 0, v9, s[0:1]
	v_add_co_u32_e64 v15, s[0:1], 1, v4
	v_addc_co_u32_e64 v16, s[0:1], 0, v9, s[0:1]
	v_subb_co_u32_e32 v8, vcc, v6, v8, vcc
	v_cmp_ne_u32_e64 s[0:1], 0, v12
	v_cmp_le_u32_e32 vcc, s25, v8
	v_cndmask_b32_e64 v12, v16, v13, s[0:1]
	v_cndmask_b32_e64 v13, 0, -1, vcc
	v_cmp_le_u32_e32 vcc, s24, v7
	v_cndmask_b32_e64 v7, 0, -1, vcc
	v_cmp_eq_u32_e32 vcc, s25, v8
	v_cndmask_b32_e32 v7, v13, v7, vcc
	v_cmp_ne_u32_e32 vcc, 0, v7
	v_cndmask_b32_e64 v7, v15, v14, s[0:1]
	v_cndmask_b32_e32 v13, v9, v12, vcc
	v_cndmask_b32_e32 v12, v4, v7, vcc
.LBB0_4:                                ;   in Loop: Header=BB0_2 Depth=1
	s_andn2_saveexec_b64 s[0:1], s[26:27]
	s_cbranch_execz .LBB0_6
; %bb.5:                                ;   in Loop: Header=BB0_2 Depth=1
	v_cvt_f32_u32_e32 v4, s24
	s_sub_i32 s26, 0, s24
	v_mov_b32_e32 v13, v3
	v_rcp_iflag_f32_e32 v4, v4
	v_mul_f32_e32 v4, 0x4f7ffffe, v4
	v_cvt_u32_f32_e32 v4, v4
	v_mul_lo_u32 v7, s26, v4
	v_mul_hi_u32 v7, v4, v7
	v_add_u32_e32 v4, v4, v7
	v_mul_hi_u32 v4, v5, v4
	v_mul_lo_u32 v7, v4, s24
	v_add_u32_e32 v8, 1, v4
	v_sub_u32_e32 v7, v5, v7
	v_subrev_u32_e32 v9, s24, v7
	v_cmp_le_u32_e32 vcc, s24, v7
	v_cndmask_b32_e32 v7, v7, v9, vcc
	v_cndmask_b32_e32 v4, v4, v8, vcc
	v_add_u32_e32 v8, 1, v4
	v_cmp_le_u32_e32 vcc, s24, v7
	v_cndmask_b32_e32 v12, v4, v8, vcc
.LBB0_6:                                ;   in Loop: Header=BB0_2 Depth=1
	s_or_b64 exec, exec, s[0:1]
	v_mul_lo_u32 v4, v13, s24
	v_mul_lo_u32 v9, v12, s25
	v_mad_u64_u32 v[7:8], s[0:1], v12, s24, 0
	s_load_dwordx2 s[0:1], s[6:7], 0x0
	s_load_dwordx2 s[24:25], s[2:3], 0x0
	v_add3_u32 v4, v8, v9, v4
	v_sub_co_u32_e32 v5, vcc, v5, v7
	v_subb_co_u32_e32 v4, vcc, v6, v4, vcc
	s_waitcnt lgkmcnt(0)
	v_mul_lo_u32 v6, s0, v4
	v_mul_lo_u32 v7, s1, v5
	v_mad_u64_u32 v[1:2], s[0:1], s0, v5, v[1:2]
	v_mul_lo_u32 v4, s24, v4
	v_mul_lo_u32 v8, s25, v5
	v_mad_u64_u32 v[10:11], s[0:1], s24, v5, v[10:11]
	s_add_u32 s22, s22, 1
	s_addc_u32 s23, s23, 0
	s_add_u32 s2, s2, 8
	v_add3_u32 v11, v8, v11, v4
	s_addc_u32 s3, s3, 0
	v_mov_b32_e32 v4, s14
	s_add_u32 s6, s6, 8
	v_mov_b32_e32 v5, s15
	s_addc_u32 s7, s7, 0
	v_cmp_ge_u64_e32 vcc, s[22:23], v[4:5]
	s_add_u32 s20, s20, 8
	v_add3_u32 v2, v7, v2, v6
	s_addc_u32 s21, s21, 0
	s_cbranch_vccnz .LBB0_9
; %bb.7:                                ;   in Loop: Header=BB0_2 Depth=1
	v_mov_b32_e32 v5, v12
	v_mov_b32_e32 v6, v13
	s_branch .LBB0_2
.LBB0_8:
	v_mov_b32_e32 v11, v2
	v_mov_b32_e32 v13, v6
	;; [unrolled: 1-line block ×4, first 2 shown]
.LBB0_9:
	s_load_dwordx2 s[4:5], s[4:5], 0x28
	s_lshl_b64 s[6:7], s[14:15], 3
	s_add_u32 s2, s18, s6
	s_addc_u32 s3, s19, s7
                                        ; implicit-def: $vgpr14
                                        ; implicit-def: $vgpr16
                                        ; implicit-def: $vgpr18
	s_waitcnt lgkmcnt(0)
	v_cmp_gt_u64_e64 s[0:1], s[4:5], v[12:13]
	v_cmp_le_u64_e32 vcc, s[4:5], v[12:13]
	s_and_saveexec_b64 s[4:5], vcc
	s_xor_b64 s[4:5], exec, s[4:5]
; %bb.10:
	s_mov_b32 s14, 0x10db20b
	v_mul_hi_u32 v1, v0, s14
	v_mul_u32_u24_e32 v1, 0xf3, v1
	v_sub_u32_e32 v14, v0, v1
	v_add_u32_e32 v16, 0xf3, v14
	v_add_u32_e32 v18, 0x1e6, v14
                                        ; implicit-def: $vgpr0
                                        ; implicit-def: $vgpr1_vgpr2
; %bb.11:
	s_andn2_saveexec_b64 s[4:5], s[4:5]
	s_cbranch_execz .LBB0_13
; %bb.12:
	s_add_u32 s6, s16, s6
	s_addc_u32 s7, s17, s7
	s_load_dwordx2 s[6:7], s[6:7], 0x0
	s_mov_b32 s14, 0x10db20b
	v_mul_hi_u32 v5, v0, s14
	s_waitcnt lgkmcnt(0)
	v_mul_lo_u32 v6, s7, v12
	v_mul_lo_u32 v7, s6, v13
	v_mad_u64_u32 v[3:4], s[6:7], s6, v12, 0
	v_mul_u32_u24_e32 v5, 0xf3, v5
	v_sub_u32_e32 v14, v0, v5
	v_add3_u32 v4, v4, v7, v6
	v_lshlrev_b64 v[3:4], 3, v[3:4]
	v_mov_b32_e32 v0, s9
	v_add_co_u32_e32 v3, vcc, s8, v3
	v_addc_co_u32_e32 v4, vcc, v0, v4, vcc
	v_lshlrev_b64 v[0:1], 3, v[1:2]
	v_lshlrev_b32_e32 v15, 3, v14
	v_add_co_u32_e32 v0, vcc, v3, v0
	v_addc_co_u32_e32 v1, vcc, v4, v1, vcc
	v_add_co_u32_e32 v0, vcc, v0, v15
	v_addc_co_u32_e32 v1, vcc, 0, v1, vcc
	s_movk_i32 s6, 0x1000
	v_add_co_u32_e32 v2, vcc, s6, v0
	v_addc_co_u32_e32 v3, vcc, 0, v1, vcc
	v_add_co_u32_e32 v4, vcc, 0x2000, v0
	v_addc_co_u32_e32 v5, vcc, 0, v1, vcc
	;; [unrolled: 2-line block ×3, first 2 shown]
	global_load_dwordx2 v[8:9], v[0:1], off
	global_load_dwordx2 v[19:20], v[0:1], off offset:1944
	global_load_dwordx2 v[21:22], v[0:1], off offset:3888
	;; [unrolled: 1-line block ×7, first 2 shown]
	v_add_u32_e32 v0, 0, v15
	v_add_u32_e32 v16, 0xf3, v14
	;; [unrolled: 1-line block ×5, first 2 shown]
	s_waitcnt vmcnt(6)
	ds_write2_b64 v0, v[8:9], v[19:20] offset1:243
	s_waitcnt vmcnt(4)
	ds_write2_b64 v1, v[21:22], v[23:24] offset0:6 offset1:249
	s_waitcnt vmcnt(2)
	ds_write2_b64 v2, v[25:26], v[27:28] offset0:12 offset1:255
	v_add_u32_e32 v0, 0x2d80, v0
	s_waitcnt vmcnt(0)
	ds_write2_b64 v0, v[29:30], v[31:32] offset0:2 offset1:245
.LBB0_13:
	s_or_b64 exec, exec, s[4:5]
	v_lshl_add_u32 v29, v14, 3, 0
	v_add_u32_e32 v0, 0xe00, v29
	s_load_dwordx2 s[4:5], s[2:3], 0x0
	s_waitcnt lgkmcnt(0)
	s_barrier
	ds_read2_b64 v[5:8], v29 offset1:243
	ds_read2_b64 v[0:3], v0 offset0:38 offset1:200
	v_add_u32_e32 v4, 0x2880, v29
	ds_read2_b64 v[19:22], v4 offset1:243
	v_add_u32_e32 v17, 0x1b80, v29
	s_movk_i32 s2, 0xa2
	s_waitcnt lgkmcnt(1)
	v_add_f32_e32 v9, v5, v2
	v_cmp_gt_u32_e64 s[2:3], s2, v14
	s_waitcnt lgkmcnt(0)
	v_add_f32_e32 v27, v9, v19
	v_add_f32_e32 v9, v6, v3
	;; [unrolled: 1-line block ×4, first 2 shown]
	v_fma_f32 v5, -0.5, v9, v5
	v_add_f32_e32 v9, v3, v20
	v_fma_f32 v6, -0.5, v9, v6
	v_sub_f32_e32 v9, v3, v20
	v_sub_f32_e32 v15, v2, v19
	ds_read_b64 v[2:3], v29 offset:14256
	ds_read2_b64 v[23:26], v17 offset0:11 offset1:254
	v_mov_b32_e32 v30, v5
	v_mov_b32_e32 v31, v6
	v_fmac_f32_e32 v30, 0xbf5db3d7, v9
	v_fmac_f32_e32 v31, 0x3f5db3d7, v15
	v_lshl_add_u32 v17, v14, 4, v29
	s_waitcnt lgkmcnt(0)
	v_add_f32_e32 v20, v8, v24
	s_barrier
	ds_write2_b64 v17, v[27:28], v[30:31] offset1:1
	v_add_f32_e32 v20, v20, v22
	v_add_f32_e32 v27, v23, v21
	v_sub_f32_e32 v28, v24, v22
	v_add_f32_e32 v22, v24, v22
	v_add_f32_e32 v19, v7, v23
	v_fmac_f32_e32 v5, 0x3f5db3d7, v9
	v_fmac_f32_e32 v6, 0xbf5db3d7, v15
	v_fma_f32 v7, -0.5, v27, v7
	v_fmac_f32_e32 v8, -0.5, v22
	v_add_f32_e32 v19, v19, v21
	v_sub_f32_e32 v21, v23, v21
	ds_write_b64 v17, v[5:6] offset:16
	v_mov_b32_e32 v5, v7
	v_mov_b32_e32 v6, v8
	v_fmac_f32_e32 v5, 0xbf5db3d7, v28
	v_fmac_f32_e32 v6, 0x3f5db3d7, v21
	v_mad_i32_i24 v15, v16, 24, 0
	ds_write2_b64 v15, v[19:20], v[5:6] offset1:1
	v_add_f32_e32 v6, v25, v2
	v_add_f32_e32 v22, v26, v3
	;; [unrolled: 1-line block ×4, first 2 shown]
	v_fma_f32 v0, -0.5, v6, v0
	v_fmac_f32_e32 v1, -0.5, v22
	v_sub_f32_e32 v9, v26, v3
	v_sub_f32_e32 v23, v25, v2
	v_mov_b32_e32 v25, v0
	v_mov_b32_e32 v26, v1
	v_add_f32_e32 v19, v5, v2
	v_add_f32_e32 v20, v17, v3
	v_fmac_f32_e32 v7, 0x3f5db3d7, v28
	v_fmac_f32_e32 v8, 0xbf5db3d7, v21
	;; [unrolled: 1-line block ×6, first 2 shown]
	ds_write_b64 v15, v[7:8] offset:16
	s_and_saveexec_b64 s[6:7], s[2:3]
	s_cbranch_execz .LBB0_15
; %bb.14:
	v_mad_i32_i24 v2, v18, 24, 0
	ds_write2_b64 v2, v[19:20], v[25:26] offset1:1
	ds_write_b64 v2, v[0:1] offset:16
.LBB0_15:
	s_or_b64 exec, exec, s[6:7]
	v_lshlrev_b32_e32 v17, 4, v16
	v_sub_u32_e32 v2, v15, v17
	s_waitcnt lgkmcnt(0)
	s_barrier
	ds_read_b64 v[23:24], v29
	ds_read_b64 v[21:22], v2
	v_add_u32_e32 v2, 0x1400, v29
	s_waitcnt lgkmcnt(1)
	ds_read_b32 v24, v29 offset:4
	ds_read2_b64 v[6:9], v2 offset0:8 offset1:251
	ds_read2_b64 v[2:5], v4 offset1:243
	v_lshl_add_u32 v30, v18, 3, 0
	s_and_saveexec_b64 s[6:7], s[2:3]
	s_cbranch_execz .LBB0_17
; %bb.16:
	ds_read_b64 v[25:26], v29 offset:9072
	ds_read_b64 v[19:20], v30
	ds_read_b64 v[0:1], v29 offset:14256
.LBB0_17:
	s_or_b64 exec, exec, s[6:7]
	s_movk_i32 s6, 0xab
	v_mul_lo_u16_sdwa v27, v14, s6 dst_sel:DWORD dst_unused:UNUSED_PAD src0_sel:BYTE_0 src1_sel:DWORD
	v_lshrrev_b16_e32 v27, 9, v27
	v_mul_lo_u16_e32 v28, 3, v27
	v_sub_u16_e32 v28, v14, v28
	v_mov_b32_e32 v31, 4
	v_lshlrev_b32_sdwa v31, v31, v28 dst_sel:DWORD dst_unused:UNUSED_PAD src0_sel:DWORD src1_sel:BYTE_0
	s_mov_b32 s6, 0xaaab
	global_load_dwordx4 v[32:35], v31, s[12:13]
	v_mul_u32_u24_sdwa v31, v16, s6 dst_sel:DWORD dst_unused:UNUSED_PAD src0_sel:WORD_0 src1_sel:DWORD
	v_lshrrev_b32_e32 v40, 17, v31
	v_mul_lo_u16_e32 v31, 3, v40
	v_sub_u16_e32 v41, v16, v31
	v_lshlrev_b32_e32 v31, 4, v41
	global_load_dwordx4 v[36:39], v31, s[12:13]
	v_mul_u32_u24_sdwa v31, v18, s6 dst_sel:DWORD dst_unused:UNUSED_PAD src0_sel:WORD_0 src1_sel:DWORD
	v_lshrrev_b32_e32 v31, 17, v31
	v_mul_u32_u24_e32 v27, 0x48, v27
	v_sub_u32_e32 v17, 0, v17
	s_waitcnt vmcnt(1) lgkmcnt(0)
	v_mul_f32_e32 v43, v35, v3
	v_mul_f32_e32 v35, v35, v2
	v_fmac_f32_e32 v43, v34, v2
	v_mul_lo_u16_e32 v2, 3, v31
	v_mul_f32_e32 v42, v33, v7
	v_mul_f32_e32 v33, v33, v6
	v_sub_u16_e32 v2, v18, v2
	v_fmac_f32_e32 v42, v32, v6
	v_fma_f32 v32, v32, v7, -v33
	v_lshlrev_b32_e32 v6, 4, v2
	s_waitcnt vmcnt(0)
	v_mul_f32_e32 v33, v37, v9
	v_mul_f32_e32 v7, v37, v8
	v_fma_f32 v3, v34, v3, -v35
	v_fmac_f32_e32 v33, v36, v8
	v_fma_f32 v34, v36, v9, -v7
	global_load_dwordx4 v[6:9], v6, s[12:13]
	v_mov_b32_e32 v35, 3
	v_lshlrev_b32_sdwa v28, v35, v28 dst_sel:DWORD dst_unused:UNUSED_PAD src0_sel:DWORD src1_sel:BYTE_0
	v_add3_u32 v35, 0, v27, v28
	v_mul_f32_e32 v27, v39, v5
	v_mul_f32_e32 v28, v39, v4
	v_fmac_f32_e32 v27, v38, v4
	v_fma_f32 v4, v38, v5, -v28
	s_waitcnt vmcnt(0)
	s_barrier
	v_add_f32_e32 v39, v33, v27
	v_sub_f32_e32 v38, v34, v4
	v_mul_f32_e32 v28, v1, v9
	v_mul_f32_e32 v5, v0, v9
	;; [unrolled: 1-line block ×4, first 2 shown]
	v_fmac_f32_e32 v28, v0, v8
	v_fma_f32 v37, v1, v8, -v5
	v_add_f32_e32 v5, v32, v3
	v_add_f32_e32 v8, v42, v43
	v_fmac_f32_e32 v36, v25, v6
	v_fma_f32 v7, v26, v6, -v7
	v_add_f32_e32 v0, v24, v32
	v_add_f32_e32 v6, v42, v23
	v_fmac_f32_e32 v23, -0.5, v8
	v_fmac_f32_e32 v24, -0.5, v5
	v_sub_f32_e32 v9, v32, v3
	v_sub_f32_e32 v32, v42, v43
	v_add_f32_e32 v1, v0, v3
	v_add_f32_e32 v0, v6, v43
	v_mov_b32_e32 v5, v23
	v_mov_b32_e32 v6, v24
	v_fmac_f32_e32 v5, 0xbf5db3d7, v9
	v_fmac_f32_e32 v6, 0x3f5db3d7, v32
	ds_write2_b64 v35, v[0:1], v[5:6] offset1:3
	v_add_f32_e32 v0, v20, v7
	v_fmac_f32_e32 v23, 0x3f5db3d7, v9
	v_add_f32_e32 v9, v0, v37
	v_add_f32_e32 v0, v7, v37
	;; [unrolled: 1-line block ×5, first 2 shown]
	v_fmac_f32_e32 v20, -0.5, v0
	v_add_f32_e32 v25, v22, v34
	v_add_f32_e32 v34, v21, v33
	v_fma_f32 v21, -0.5, v39, v21
	v_fmac_f32_e32 v22, -0.5, v26
	v_fmac_f32_e32 v19, -0.5, v44
	v_add_f32_e32 v8, v42, v28
	v_sub_f32_e32 v0, v36, v28
	v_mov_b32_e32 v28, v20
	v_sub_f32_e32 v33, v33, v27
	v_sub_f32_e32 v45, v7, v37
	v_add_f32_e32 v4, v25, v4
	v_add_f32_e32 v3, v34, v27
	v_mov_b32_e32 v25, v21
	v_mov_b32_e32 v26, v22
	;; [unrolled: 1-line block ×3, first 2 shown]
	v_fmac_f32_e32 v28, 0x3f5db3d7, v0
	v_fmac_f32_e32 v20, 0xbf5db3d7, v0
	v_mul_u32_u24_e32 v0, 0x48, v40
	v_lshlrev_b32_e32 v1, 3, v41
	v_fmac_f32_e32 v24, 0xbf5db3d7, v32
	v_fmac_f32_e32 v19, 0x3f5db3d7, v45
	;; [unrolled: 1-line block ×5, first 2 shown]
	v_add3_u32 v0, 0, v0, v1
	v_fmac_f32_e32 v21, 0x3f5db3d7, v38
	v_fmac_f32_e32 v22, 0xbf5db3d7, v33
	ds_write_b64 v35, v[23:24] offset:48
	ds_write2_b64 v0, v[3:4], v[25:26] offset1:3
	ds_write_b64 v0, v[21:22] offset:48
	s_and_saveexec_b64 s[6:7], s[2:3]
	s_cbranch_execz .LBB0_19
; %bb.18:
	v_mul_lo_u16_e32 v0, 9, v31
	v_lshlrev_b32_e32 v1, 3, v2
	v_lshlrev_b32_e32 v0, 3, v0
	v_add3_u32 v0, 0, v1, v0
	ds_write2_b64 v0, v[8:9], v[27:28] offset1:3
	ds_write_b64 v0, v[19:20] offset:48
.LBB0_19:
	s_or_b64 exec, exec, s[6:7]
	v_add_u32_e32 v0, 0x1400, v29
	s_waitcnt lgkmcnt(0)
	s_barrier
	ds_read2_b64 v[4:7], v0 offset0:8 offset1:251
	v_add_u32_e32 v0, 0x2880, v29
	ds_read2_b64 v[0:3], v0 offset1:243
	v_add_u32_e32 v31, v15, v17
	ds_read_b64 v[25:26], v29
	ds_read_b64 v[23:24], v31
	s_and_saveexec_b64 s[6:7], s[2:3]
	s_cbranch_execz .LBB0_21
; %bb.20:
	ds_read_b64 v[27:28], v29 offset:9072
	ds_read_b64 v[8:9], v30
	ds_read_b64 v[19:20], v29 offset:14256
.LBB0_21:
	s_or_b64 exec, exec, s[6:7]
	v_mov_b32_e32 v15, 57
	v_mul_lo_u16_sdwa v15, v14, v15 dst_sel:DWORD dst_unused:UNUSED_PAD src0_sel:BYTE_0 src1_sel:DWORD
	v_lshrrev_b16_e32 v40, 9, v15
	v_mul_lo_u16_e32 v15, 9, v40
	v_sub_u16_e32 v41, v14, v15
	v_mov_b32_e32 v15, 4
	v_lshlrev_b32_sdwa v15, v15, v41 dst_sel:DWORD dst_unused:UNUSED_PAD src0_sel:DWORD src1_sel:BYTE_0
	global_load_dwordx4 v[32:35], v15, s[12:13] offset:48
	s_mov_b32 s6, 0xe38f
	v_mul_u32_u24_sdwa v15, v16, s6 dst_sel:DWORD dst_unused:UNUSED_PAD src0_sel:WORD_0 src1_sel:DWORD
	v_mul_u32_u24_sdwa v17, v18, s6 dst_sel:DWORD dst_unused:UNUSED_PAD src0_sel:WORD_0 src1_sel:DWORD
	v_lshrrev_b32_e32 v42, 19, v15
	v_lshrrev_b32_e32 v15, 19, v17
	v_mul_lo_u16_e32 v17, 9, v42
	v_mul_lo_u16_e32 v21, 9, v15
	v_sub_u16_e32 v43, v16, v17
	v_sub_u16_e32 v17, v18, v21
	v_lshlrev_b32_e32 v21, 4, v43
	global_load_dwordx4 v[36:39], v21, s[12:13] offset:48
	v_lshlrev_b32_e32 v22, 4, v17
	s_waitcnt vmcnt(1) lgkmcnt(3)
	v_mul_f32_e32 v21, v33, v5
	v_mul_f32_e32 v33, v33, v4
	s_waitcnt lgkmcnt(2)
	v_mul_f32_e32 v44, v35, v1
	v_mul_f32_e32 v35, v35, v0
	v_fmac_f32_e32 v21, v32, v4
	v_fma_f32 v4, v32, v5, -v33
	v_fmac_f32_e32 v44, v34, v0
	v_fma_f32 v1, v34, v1, -v35
	global_load_dwordx4 v[32:35], v22, s[12:13] offset:48
	s_waitcnt vmcnt(0) lgkmcnt(0)
	s_barrier
	v_mul_f32_e32 v5, v37, v6
	v_mul_f32_e32 v0, v37, v7
	v_fma_f32 v5, v36, v7, -v5
	v_mul_f32_e32 v7, v39, v2
	v_fmac_f32_e32 v0, v36, v6
	v_mul_f32_e32 v6, v39, v3
	v_fma_f32 v3, v38, v3, -v7
	v_fmac_f32_e32 v6, v38, v2
	v_add_f32_e32 v36, v24, v5
	v_sub_f32_e32 v37, v0, v6
	v_mul_f32_e32 v7, v20, v35
	v_mul_f32_e32 v22, v28, v33
	v_mul_f32_e32 v33, v27, v33
	v_mul_f32_e32 v2, v19, v35
	v_fmac_f32_e32 v7, v19, v34
	v_add_f32_e32 v19, v21, v44
	v_fmac_f32_e32 v22, v27, v32
	v_fma_f32 v27, v28, v32, -v33
	v_fma_f32 v20, v20, v34, -v2
	v_add_f32_e32 v2, v21, v25
	v_sub_f32_e32 v28, v4, v1
	v_add_f32_e32 v32, v4, v26
	v_add_f32_e32 v4, v4, v1
	v_fma_f32 v25, -0.5, v19, v25
	v_fmac_f32_e32 v26, -0.5, v4
	v_mov_b32_e32 v4, v25
	v_sub_f32_e32 v35, v5, v3
	v_add_f32_e32 v5, v5, v3
	v_sub_f32_e32 v45, v27, v20
	v_add_f32_e32 v46, v9, v27
	v_add_f32_e32 v27, v27, v20
	v_fmac_f32_e32 v25, 0x3f5db3d7, v28
	v_fmac_f32_e32 v4, 0xbf5db3d7, v28
	v_mov_b32_e32 v28, 3
	v_sub_f32_e32 v33, v21, v44
	v_add_f32_e32 v34, v0, v6
	v_add_f32_e32 v39, v22, v7
	v_fmac_f32_e32 v24, -0.5, v5
	v_fmac_f32_e32 v9, -0.5, v27
	v_mov_b32_e32 v5, v26
	v_mul_u32_u24_e32 v27, 0xd8, v40
	v_lshlrev_b32_sdwa v28, v28, v41 dst_sel:DWORD dst_unused:UNUSED_PAD src0_sel:DWORD src1_sel:BYTE_0
	v_add_f32_e32 v21, v23, v0
	v_add_f32_e32 v38, v8, v22
	;; [unrolled: 1-line block ×4, first 2 shown]
	v_fma_f32 v23, -0.5, v34, v23
	v_fmac_f32_e32 v8, -0.5, v39
	v_fmac_f32_e32 v5, 0x3f5db3d7, v33
	v_add3_u32 v27, 0, v27, v28
	v_sub_f32_e32 v47, v22, v7
	v_add_f32_e32 v2, v21, v6
	v_add_f32_e32 v19, v38, v7
	v_fmac_f32_e32 v26, 0xbf5db3d7, v33
	v_mov_b32_e32 v6, v23
	v_mov_b32_e32 v7, v24
	;; [unrolled: 1-line block ×4, first 2 shown]
	ds_write2_b64 v27, v[0:1], v[4:5] offset1:9
	ds_write_b64 v27, v[25:26] offset:144
	v_mul_u32_u24_e32 v0, 0xd8, v42
	v_lshlrev_b32_e32 v1, 3, v43
	v_add_f32_e32 v3, v36, v3
	v_add_f32_e32 v20, v46, v20
	v_fmac_f32_e32 v8, 0x3f5db3d7, v45
	v_fmac_f32_e32 v6, 0xbf5db3d7, v35
	;; [unrolled: 1-line block ×6, first 2 shown]
	v_add3_u32 v0, 0, v0, v1
	v_fmac_f32_e32 v23, 0x3f5db3d7, v35
	v_fmac_f32_e32 v24, 0xbf5db3d7, v37
	ds_write2_b64 v0, v[2:3], v[6:7] offset1:9
	ds_write_b64 v0, v[23:24] offset:144
	s_and_saveexec_b64 s[6:7], s[2:3]
	s_cbranch_execz .LBB0_23
; %bb.22:
	v_mul_lo_u16_e32 v0, 27, v15
	v_lshlrev_b32_e32 v1, 3, v17
	v_lshlrev_b32_e32 v0, 3, v0
	v_add3_u32 v0, 0, v1, v0
	ds_write2_b64 v0, v[19:20], v[21:22] offset1:9
	ds_write_b64 v0, v[8:9] offset:144
.LBB0_23:
	s_or_b64 exec, exec, s[6:7]
	v_add_u32_e32 v0, 0x1400, v29
	s_waitcnt lgkmcnt(0)
	s_barrier
	ds_read2_b64 v[4:7], v0 offset0:8 offset1:251
	v_add_u32_e32 v0, 0x2880, v29
	ds_read2_b64 v[0:3], v0 offset1:243
	ds_read_b64 v[25:26], v29
	ds_read_b64 v[23:24], v31
	s_and_saveexec_b64 s[6:7], s[2:3]
	s_cbranch_execz .LBB0_25
; %bb.24:
	ds_read_b64 v[21:22], v29 offset:9072
	ds_read_b64 v[19:20], v30
	ds_read_b64 v[8:9], v29 offset:14256
.LBB0_25:
	s_or_b64 exec, exec, s[6:7]
	v_mov_b32_e32 v15, 19
	v_mul_lo_u16_sdwa v15, v14, v15 dst_sel:DWORD dst_unused:UNUSED_PAD src0_sel:BYTE_0 src1_sel:DWORD
	v_lshrrev_b16_e32 v40, 9, v15
	v_mul_lo_u16_e32 v15, 27, v40
	v_sub_u16_e32 v41, v14, v15
	v_mov_b32_e32 v15, 4
	v_lshlrev_b32_sdwa v15, v15, v41 dst_sel:DWORD dst_unused:UNUSED_PAD src0_sel:DWORD src1_sel:BYTE_0
	global_load_dwordx4 v[32:35], v15, s[12:13] offset:192
	s_movk_i32 s6, 0x2f69
	v_mul_u32_u24_sdwa v15, v16, s6 dst_sel:DWORD dst_unused:UNUSED_PAD src0_sel:WORD_0 src1_sel:DWORD
	v_sub_u16_sdwa v27, v16, v15 dst_sel:DWORD dst_unused:UNUSED_PAD src0_sel:DWORD src1_sel:WORD_1
	v_lshrrev_b16_e32 v27, 1, v27
	v_add_u16_sdwa v15, v27, v15 dst_sel:DWORD dst_unused:UNUSED_PAD src0_sel:DWORD src1_sel:WORD_1
	v_lshrrev_b16_e32 v42, 4, v15
	v_mul_u32_u24_sdwa v17, v18, s6 dst_sel:DWORD dst_unused:UNUSED_PAD src0_sel:WORD_0 src1_sel:DWORD
	v_mul_lo_u16_e32 v15, 27, v42
	v_sub_u16_sdwa v28, v18, v17 dst_sel:DWORD dst_unused:UNUSED_PAD src0_sel:DWORD src1_sel:WORD_1
	v_sub_u16_e32 v43, v16, v15
	v_lshrrev_b16_e32 v28, 1, v28
	v_lshlrev_b32_e32 v15, 4, v43
	global_load_dwordx4 v[36:39], v15, s[12:13] offset:192
	v_add_u16_sdwa v15, v28, v17 dst_sel:DWORD dst_unused:UNUSED_PAD src0_sel:DWORD src1_sel:WORD_1
	v_lshrrev_b16_e32 v15, 4, v15
	v_mul_lo_u16_e32 v17, 27, v15
	v_sub_u16_e32 v17, v18, v17
	v_lshlrev_b32_e32 v27, 4, v17
	s_waitcnt vmcnt(1) lgkmcnt(3)
	v_mul_f32_e32 v28, v33, v5
	v_mul_f32_e32 v33, v33, v4
	s_waitcnt lgkmcnt(2)
	v_mul_f32_e32 v44, v35, v1
	v_mul_f32_e32 v35, v35, v0
	v_fmac_f32_e32 v28, v32, v4
	v_fma_f32 v4, v32, v5, -v33
	v_fmac_f32_e32 v44, v34, v0
	v_fma_f32 v0, v34, v1, -v35
	global_load_dwordx4 v[32:35], v27, s[12:13] offset:192
	v_sub_f32_e32 v45, v28, v44
	s_waitcnt vmcnt(0) lgkmcnt(0)
	s_barrier
	v_mul_f32_e32 v5, v37, v7
	v_mul_f32_e32 v1, v37, v6
	v_fmac_f32_e32 v5, v36, v6
	v_fma_f32 v6, v36, v7, -v1
	v_mul_f32_e32 v37, v39, v3
	v_mul_f32_e32 v1, v39, v2
	v_fmac_f32_e32 v37, v38, v2
	v_fma_f32 v38, v38, v3, -v1
	v_sub_f32_e32 v39, v4, v0
	v_add_f32_e32 v3, v4, v26
	v_add_f32_e32 v4, v4, v0
	v_add_f32_e32 v7, v28, v25
	v_add_f32_e32 v36, v28, v44
	v_add_f32_e32 v28, v3, v0
	v_fmac_f32_e32 v26, -0.5, v4
	v_fma_f32 v25, -0.5, v36, v25
	v_add_f32_e32 v0, v23, v5
	v_add_f32_e32 v27, v7, v44
	v_mul_f32_e32 v1, v22, v33
	v_mul_f32_e32 v33, v21, v33
	;; [unrolled: 1-line block ×4, first 2 shown]
	v_fma_f32 v3, v22, v32, -v33
	v_fmac_f32_e32 v2, v8, v34
	v_fma_f32 v4, v9, v34, -v35
	v_add_f32_e32 v8, v5, v37
	v_fmac_f32_e32 v1, v21, v32
	v_add_f32_e32 v21, v6, v38
	v_add_f32_e32 v36, v3, v4
	v_fma_f32 v23, -0.5, v8, v23
	v_mov_b32_e32 v32, v25
	v_sub_f32_e32 v22, v6, v38
	v_add_f32_e32 v9, v24, v6
	v_add_f32_e32 v34, v0, v37
	v_fmac_f32_e32 v24, -0.5, v21
	v_fma_f32 v21, -0.5, v36, v20
	v_mov_b32_e32 v36, v23
	v_mov_b32_e32 v0, 3
	v_fmac_f32_e32 v25, 0x3f5db3d7, v39
	v_mov_b32_e32 v33, v26
	v_fmac_f32_e32 v32, 0xbf5db3d7, v39
	v_sub_f32_e32 v39, v5, v37
	v_add_f32_e32 v5, v1, v2
	v_add_f32_e32 v35, v9, v38
	v_fmac_f32_e32 v23, 0x3f5db3d7, v22
	v_fmac_f32_e32 v36, 0xbf5db3d7, v22
	v_mul_u32_u24_e32 v22, 0x288, v40
	v_lshlrev_b32_sdwa v38, v0, v41 dst_sel:DWORD dst_unused:UNUSED_PAD src0_sel:DWORD src1_sel:BYTE_0
	v_fmac_f32_e32 v33, 0x3f5db3d7, v45
	v_fma_f32 v5, -0.5, v5, v19
	v_add3_u32 v22, 0, v22, v38
	v_fmac_f32_e32 v26, 0xbf5db3d7, v45
	v_sub_f32_e32 v6, v3, v4
	v_sub_f32_e32 v7, v1, v2
	v_mov_b32_e32 v37, v24
	v_mov_b32_e32 v8, v5
	;; [unrolled: 1-line block ×3, first 2 shown]
	ds_write2_b64 v22, v[27:28], v[32:33] offset1:27
	ds_write_b64 v22, v[25:26] offset:432
	v_mul_u32_u24_e32 v22, 0x288, v42
	v_lshlrev_b32_e32 v25, 3, v43
	v_fmac_f32_e32 v37, 0x3f5db3d7, v39
	v_fmac_f32_e32 v8, 0x3f5db3d7, v6
	;; [unrolled: 1-line block ×3, first 2 shown]
	v_add3_u32 v22, 0, v22, v25
	v_fmac_f32_e32 v24, 0xbf5db3d7, v39
	ds_write2_b64 v22, v[34:35], v[36:37] offset1:27
	ds_write_b64 v22, v[23:24] offset:432
	s_and_saveexec_b64 s[6:7], s[2:3]
	s_cbranch_execz .LBB0_27
; %bb.26:
	v_add_f32_e32 v1, v19, v1
	v_add_f32_e32 v3, v20, v3
	;; [unrolled: 1-line block ×3, first 2 shown]
	v_mul_lo_u16_e32 v1, 0x51, v15
	v_mul_f32_e32 v22, 0x3f5db3d7, v6
	v_mul_f32_e32 v6, 0x3f5db3d7, v7
	v_add_f32_e32 v3, v3, v4
	v_lshlrev_b32_e32 v4, 3, v17
	v_lshlrev_b32_e32 v1, 3, v1
	v_add_f32_e32 v6, v6, v21
	v_sub_f32_e32 v5, v5, v22
	v_add3_u32 v1, 0, v4, v1
	ds_write2_b64 v1, v[2:3], v[5:6] offset1:27
	ds_write_b64 v1, v[8:9] offset:432
.LBB0_27:
	s_or_b64 exec, exec, s[6:7]
	s_movk_i32 s6, 0xcb
	v_mul_lo_u16_sdwa v1, v14, s6 dst_sel:DWORD dst_unused:UNUSED_PAD src0_sel:BYTE_0 src1_sel:DWORD
	v_lshrrev_b16_e32 v7, 14, v1
	v_mul_lo_u16_e32 v1, 0x51, v7
	v_sub_u16_e32 v15, v14, v1
	v_mov_b32_e32 v1, 7
	v_mul_u32_u24_sdwa v1, v15, v1 dst_sel:DWORD dst_unused:UNUSED_PAD src0_sel:BYTE_0 src1_sel:DWORD
	v_lshlrev_b32_e32 v17, 3, v1
	s_waitcnt lgkmcnt(0)
	s_barrier
	global_load_dwordx4 v[1:4], v17, s[12:13] offset:640
	global_load_dwordx4 v[19:22], v17, s[12:13] offset:624
	;; [unrolled: 1-line block ×3, first 2 shown]
	global_load_dwordx2 v[5:6], v17, s[12:13] offset:672
	v_add_u32_e32 v17, 0x1680, v29
	ds_read_b64 v[27:28], v30
	ds_read_b64 v[36:37], v29
	ds_read_b64 v[38:39], v29 offset:9720
	ds_read2_b64 v[32:35], v17 offset0:9 offset1:252
	v_add_u32_e32 v17, 0x2c00, v29
	ds_read_b64 v[40:41], v31
	ds_read_b64 v[42:43], v29 offset:13608
	ds_read2_b32 v[44:45], v17 offset0:100 offset1:101
	v_mul_u32_u24_e32 v7, 0x1440, v7
	v_lshlrev_b32_sdwa v0, v0, v15 dst_sel:DWORD dst_unused:UNUSED_PAD src0_sel:DWORD src1_sel:BYTE_0
	v_add3_u32 v0, 0, v7, v0
	s_waitcnt vmcnt(0) lgkmcnt(0)
	s_barrier
	v_mul_f32_e32 v17, v2, v33
	v_mul_f32_e32 v2, v2, v32
	;; [unrolled: 1-line block ×4, first 2 shown]
	v_fmac_f32_e32 v17, v1, v32
	v_fma_f32 v1, v1, v33, -v2
	v_fmac_f32_e32 v46, v3, v34
	v_fma_f32 v2, v3, v35, -v4
	v_mul_f32_e32 v3, v22, v28
	v_mul_f32_e32 v32, v45, v26
	;; [unrolled: 1-line block ×10, first 2 shown]
	v_fmac_f32_e32 v3, v21, v27
	v_fmac_f32_e32 v32, v25, v44
	;; [unrolled: 1-line block ×3, first 2 shown]
	v_fma_f32 v19, v19, v41, -v20
	v_fma_f32 v4, v21, v28, -v4
	v_fmac_f32_e32 v22, v23, v38
	v_fma_f32 v20, v23, v39, -v24
	v_fma_f32 v21, v45, v25, -v26
	v_fmac_f32_e32 v33, v42, v5
	v_fma_f32 v5, v43, v5, -v6
	v_sub_f32_e32 v2, v37, v2
	v_sub_f32_e32 v23, v3, v32
	;; [unrolled: 1-line block ×9, first 2 shown]
	v_fma_f32 v25, v36, 2.0, -v6
	v_fma_f32 v3, v3, 2.0, -v23
	;; [unrolled: 1-line block ×5, first 2 shown]
	v_add_f32_e32 v28, v6, v21
	v_sub_f32_e32 v34, v20, v24
	v_fma_f32 v24, v2, 2.0, -v32
	v_fma_f32 v26, v37, 2.0, -v2
	;; [unrolled: 1-line block ×4, first 2 shown]
	v_add_f32_e32 v33, v22, v5
	v_sub_f32_e32 v21, v25, v3
	v_fma_f32 v23, v6, 2.0, -v28
	v_sub_f32_e32 v36, v19, v1
	v_fma_f32 v20, v20, 2.0, -v34
	v_mov_b32_e32 v2, v24
	v_sub_f32_e32 v35, v26, v4
	v_sub_f32_e32 v17, v27, v17
	v_fma_f32 v22, v22, 2.0, -v33
	v_fma_f32 v4, v19, 2.0, -v36
	v_mov_b32_e32 v1, v23
	v_fmac_f32_e32 v2, 0xbf3504f3, v20
	v_add_f32_e32 v19, v21, v36
	v_fma_f32 v5, v25, 2.0, -v21
	v_fma_f32 v6, v26, 2.0, -v35
	;; [unrolled: 1-line block ×3, first 2 shown]
	v_fmac_f32_e32 v1, 0xbf3504f3, v22
	v_fmac_f32_e32 v2, 0xbf3504f3, v22
	v_fma_f32 v25, v21, 2.0, -v19
	v_mov_b32_e32 v21, v28
	v_mov_b32_e32 v22, v32
	v_sub_f32_e32 v3, v5, v3
	v_sub_f32_e32 v4, v6, v4
	v_fmac_f32_e32 v1, 0x3f3504f3, v20
	v_fmac_f32_e32 v21, 0x3f3504f3, v33
	;; [unrolled: 1-line block ×3, first 2 shown]
	v_fma_f32 v5, v5, 2.0, -v3
	v_fma_f32 v6, v6, 2.0, -v4
	;; [unrolled: 1-line block ×4, first 2 shown]
	v_sub_f32_e32 v20, v35, v17
	v_fmac_f32_e32 v21, 0x3f3504f3, v34
	v_fmac_f32_e32 v22, 0xbf3504f3, v33
	v_fma_f32 v26, v35, 2.0, -v20
	v_fma_f32 v27, v28, 2.0, -v21
	;; [unrolled: 1-line block ×3, first 2 shown]
	ds_write2_b64 v0, v[5:6], v[23:24] offset1:81
	ds_write2_b64 v0, v[25:26], v[27:28] offset0:162 offset1:243
	v_add_u32_e32 v5, 0x800, v0
	v_add_u32_e32 v0, 0xc00, v0
	ds_write2_b64 v5, v[3:4], v[1:2] offset0:68 offset1:149
	ds_write2_b64 v0, v[19:20], v[21:22] offset0:102 offset1:183
	v_add_u32_e32 v0, 0x1400, v29
	v_add_u32_e32 v4, 0x2880, v29
	s_waitcnt lgkmcnt(0)
	s_barrier
	ds_read2_b64 v[0:3], v0 offset0:8 offset1:251
	ds_read2_b64 v[4:7], v4 offset1:243
	ds_read_b64 v[25:26], v29
	ds_read_b64 v[23:24], v31
	s_and_saveexec_b64 s[6:7], s[2:3]
	s_cbranch_execz .LBB0_29
; %bb.28:
	ds_read_b64 v[21:22], v29 offset:9072
	ds_read_b64 v[19:20], v30
	ds_read_b64 v[8:9], v29 offset:14256
.LBB0_29:
	s_or_b64 exec, exec, s[6:7]
	v_lshlrev_b32_e32 v27, 1, v14
	v_mov_b32_e32 v28, 0
	v_lshlrev_b64 v[32:33], 3, v[27:28]
	v_mov_b32_e32 v15, s13
	v_add_co_u32_e32 v17, vcc, s12, v32
	v_addc_co_u32_e32 v27, vcc, v15, v33, vcc
	v_add_co_u32_e32 v32, vcc, 0x1000, v17
	v_addc_co_u32_e32 v33, vcc, 0, v27, vcc
	v_lshlrev_b32_e32 v27, 1, v16
	v_lshlrev_b64 v[36:37], 3, v[27:28]
	s_movk_i32 s6, 0x1000
	v_add_co_u32_e32 v17, vcc, s12, v36
	v_addc_co_u32_e32 v15, vcc, v15, v37, vcc
	v_add_co_u32_e32 v36, vcc, s6, v17
	v_addc_co_u32_e32 v37, vcc, 0, v15, vcc
	global_load_dwordx4 v[32:35], v[32:33], off offset:1064
	s_nop 0
	global_load_dwordx4 v[36:39], v[36:37], off offset:1064
	s_waitcnt vmcnt(0) lgkmcnt(0)
	s_barrier
	v_mul_f32_e32 v15, v33, v1
	v_mul_f32_e32 v17, v33, v0
	v_mul_f32_e32 v27, v35, v5
	v_mul_f32_e32 v33, v35, v4
	v_mul_f32_e32 v35, v37, v3
	v_mul_f32_e32 v37, v37, v2
	v_mul_f32_e32 v40, v39, v7
	v_mul_f32_e32 v39, v39, v6
	v_fmac_f32_e32 v15, v32, v0
	v_fma_f32 v0, v32, v1, -v17
	v_fmac_f32_e32 v27, v34, v4
	v_fma_f32 v1, v34, v5, -v33
	v_fmac_f32_e32 v35, v36, v2
	v_fma_f32 v2, v36, v3, -v37
	v_fmac_f32_e32 v40, v38, v6
	v_fma_f32 v3, v38, v7, -v39
	v_add_f32_e32 v5, v15, v27
	v_add_f32_e32 v7, v0, v1
	;; [unrolled: 1-line block ×5, first 2 shown]
	v_sub_f32_e32 v17, v0, v1
	v_add_f32_e32 v6, v0, v26
	v_sub_f32_e32 v15, v15, v27
	v_add_f32_e32 v32, v23, v35
	v_add_f32_e32 v36, v24, v2
	v_fma_f32 v25, -0.5, v5, v25
	v_fmac_f32_e32 v26, -0.5, v7
	v_fma_f32 v23, -0.5, v33, v23
	v_fmac_f32_e32 v24, -0.5, v37
	v_sub_f32_e32 v34, v2, v3
	v_sub_f32_e32 v35, v35, v40
	v_add_f32_e32 v0, v4, v27
	v_add_f32_e32 v1, v6, v1
	v_mov_b32_e32 v4, v25
	v_fmac_f32_e32 v25, 0x3f5db3d7, v17
	v_mov_b32_e32 v5, v26
	v_fmac_f32_e32 v26, 0xbf5db3d7, v15
	v_mov_b32_e32 v6, v23
	v_mov_b32_e32 v7, v24
	v_add_f32_e32 v2, v32, v40
	v_add_f32_e32 v3, v36, v3
	v_fmac_f32_e32 v23, 0x3f5db3d7, v34
	v_fmac_f32_e32 v24, 0xbf5db3d7, v35
	ds_write_b64 v29, v[0:1]
	v_fmac_f32_e32 v4, 0xbf5db3d7, v17
	v_fmac_f32_e32 v5, 0x3f5db3d7, v15
	;; [unrolled: 1-line block ×4, first 2 shown]
	ds_write_b64 v29, v[25:26] offset:10368
	ds_write_b64 v29, v[4:5] offset:5184
	ds_write_b64 v31, v[2:3]
	ds_write_b64 v31, v[6:7] offset:5184
	ds_write_b64 v31, v[23:24] offset:10368
	s_and_saveexec_b64 s[6:7], s[2:3]
	s_cbranch_execz .LBB0_31
; %bb.30:
	v_add_u32_e32 v0, 0xffffff5e, v14
	v_cndmask_b32_e64 v0, v0, v18, s[2:3]
	v_lshlrev_b32_e32 v27, 1, v0
	v_lshlrev_b64 v[0:1], 3, v[27:28]
	v_mov_b32_e32 v2, s13
	v_add_co_u32_e32 v0, vcc, s12, v0
	v_addc_co_u32_e32 v1, vcc, v2, v1, vcc
	v_add_co_u32_e32 v0, vcc, 0x1000, v0
	v_addc_co_u32_e32 v1, vcc, 0, v1, vcc
	global_load_dwordx4 v[0:3], v[0:1], off offset:1064
	s_waitcnt vmcnt(0)
	v_mul_f32_e32 v4, v8, v3
	v_mul_f32_e32 v5, v21, v1
	;; [unrolled: 1-line block ×4, first 2 shown]
	v_fma_f32 v4, v9, v2, -v4
	v_fma_f32 v5, v22, v0, -v5
	v_fmac_f32_e32 v1, v21, v0
	v_fmac_f32_e32 v3, v8, v2
	v_add_f32_e32 v6, v5, v4
	v_add_f32_e32 v8, v1, v3
	;; [unrolled: 1-line block ×4, first 2 shown]
	v_sub_f32_e32 v7, v1, v3
	v_sub_f32_e32 v5, v5, v4
	v_fmac_f32_e32 v20, -0.5, v6
	v_fmac_f32_e32 v19, -0.5, v8
	v_add_f32_e32 v1, v0, v4
	v_add_f32_e32 v0, v2, v3
	v_mov_b32_e32 v3, v20
	v_fmac_f32_e32 v20, 0x3f5db3d7, v7
	v_mov_b32_e32 v2, v19
	v_fmac_f32_e32 v19, 0xbf5db3d7, v5
	ds_write_b64 v29, v[0:1] offset:3888
	v_fmac_f32_e32 v3, 0xbf5db3d7, v7
	v_fmac_f32_e32 v2, 0x3f5db3d7, v5
	ds_write_b64 v29, v[19:20] offset:9072
	ds_write_b64 v29, v[2:3] offset:14256
.LBB0_31:
	s_or_b64 exec, exec, s[6:7]
	s_waitcnt lgkmcnt(0)
	s_barrier
	ds_read_b64 v[2:3], v29
	s_add_u32 s6, s12, 0x3ca8
	v_lshlrev_b32_e32 v0, 3, v14
	s_addc_u32 s7, s13, 0
	v_sub_u32_e32 v4, 0, v0
	v_cmp_ne_u32_e32 vcc, 0, v14
                                        ; implicit-def: $vgpr0
                                        ; implicit-def: $vgpr5
                                        ; implicit-def: $vgpr6
	s_and_saveexec_b64 s[2:3], vcc
	s_xor_b64 s[2:3], exec, s[2:3]
	s_cbranch_execz .LBB0_33
; %bb.32:
	v_mov_b32_e32 v15, 0
	v_lshlrev_b64 v[0:1], 3, v[14:15]
	v_mov_b32_e32 v5, s7
	v_add_co_u32_e32 v0, vcc, s6, v0
	v_addc_co_u32_e32 v1, vcc, v5, v1, vcc
	global_load_dwordx2 v[7:8], v[0:1], off
	ds_read_b64 v[0:1], v4 offset:15552
	s_waitcnt lgkmcnt(0)
	v_add_f32_e32 v9, v0, v2
	v_sub_f32_e32 v0, v2, v0
	v_add_f32_e32 v5, v1, v3
	v_sub_f32_e32 v1, v3, v1
	v_mul_f32_e32 v3, 0.5, v0
	v_mul_f32_e32 v2, 0.5, v5
	;; [unrolled: 1-line block ×3, first 2 shown]
	s_waitcnt vmcnt(0)
	v_mul_f32_e32 v1, v8, v3
	v_fma_f32 v6, v2, v8, v0
	v_fma_f32 v8, v2, v8, -v0
	v_fma_f32 v5, 0.5, v9, v1
	v_fma_f32 v0, v9, 0.5, -v1
	v_fma_f32 v6, -v7, v3, v6
	v_fmac_f32_e32 v5, v7, v2
	v_fma_f32 v0, -v7, v2, v0
	v_fma_f32 v1, -v7, v3, v8
                                        ; implicit-def: $vgpr2_vgpr3
.LBB0_33:
	s_andn2_saveexec_b64 s[2:3], s[2:3]
	s_cbranch_execz .LBB0_35
; %bb.34:
	v_mov_b32_e32 v6, 0
	ds_read_b32 v1, v6 offset:7780
	s_waitcnt lgkmcnt(1)
	v_add_f32_e32 v5, v2, v3
	v_sub_f32_e32 v0, v2, v3
	s_waitcnt lgkmcnt(0)
	v_xor_b32_e32 v1, 0x80000000, v1
	ds_write_b32 v6, v1 offset:7780
	v_mov_b32_e32 v1, 0
.LBB0_35:
	s_or_b64 exec, exec, s[2:3]
	v_mov_b32_e32 v17, 0
	s_waitcnt lgkmcnt(0)
	v_lshlrev_b64 v[2:3], 3, v[16:17]
	v_mov_b32_e32 v7, s7
	v_add_co_u32_e32 v2, vcc, s6, v2
	v_addc_co_u32_e32 v3, vcc, v7, v3, vcc
	global_load_dwordx2 v[2:3], v[2:3], off
	v_mov_b32_e32 v19, v17
	v_lshlrev_b64 v[7:8], 3, v[18:19]
	v_mov_b32_e32 v9, s7
	v_add_co_u32_e32 v7, vcc, s6, v7
	v_addc_co_u32_e32 v8, vcc, v9, v8, vcc
	global_load_dwordx2 v[7:8], v[7:8], off
	v_add_u32_e32 v16, 0x2d9, v14
	v_lshlrev_b64 v[15:16], 3, v[16:17]
	v_add_co_u32_e32 v15, vcc, s6, v15
	v_addc_co_u32_e32 v16, vcc, v9, v16, vcc
	global_load_dwordx2 v[15:16], v[15:16], off
	ds_write2_b32 v29, v5, v6 offset1:1
	ds_write_b64 v4, v[0:1] offset:15552
	ds_read_b64 v[0:1], v31
	ds_read_b64 v[5:6], v4 offset:13608
	s_waitcnt lgkmcnt(0)
	v_add_f32_e32 v9, v0, v5
	v_add_f32_e32 v18, v1, v6
	v_sub_f32_e32 v0, v0, v5
	v_sub_f32_e32 v1, v1, v6
	v_mul_f32_e32 v5, 0.5, v18
	v_mul_f32_e32 v0, 0.5, v0
	;; [unrolled: 1-line block ×3, first 2 shown]
	s_waitcnt vmcnt(2)
	v_mul_f32_e32 v6, v3, v0
	v_fma_f32 v18, v5, v3, v1
	v_fma_f32 v1, v5, v3, -v1
	v_fma_f32 v3, 0.5, v9, v6
	v_fma_f32 v18, -v2, v0, v18
	v_fma_f32 v6, v9, 0.5, -v6
	v_fma_f32 v0, -v2, v0, v1
	v_fmac_f32_e32 v3, v2, v5
	ds_write_b32 v31, v18 offset:4
	v_fma_f32 v1, -v2, v5, v6
	ds_write_b32 v4, v0 offset:13612
	ds_write_b32 v31, v3
	ds_write_b32 v4, v1 offset:13608
	ds_read_b64 v[0:1], v30
	ds_read_b64 v[2:3], v4 offset:11664
	s_waitcnt lgkmcnt(0)
	v_add_f32_e32 v5, v0, v2
	v_sub_f32_e32 v0, v0, v2
	v_add_f32_e32 v6, v1, v3
	v_sub_f32_e32 v1, v1, v3
	v_mul_f32_e32 v0, 0.5, v0
	v_mul_f32_e32 v2, 0.5, v6
	;; [unrolled: 1-line block ×3, first 2 shown]
	s_waitcnt vmcnt(1)
	v_mul_f32_e32 v3, v8, v0
	v_fma_f32 v6, v2, v8, v1
	v_fma_f32 v1, v2, v8, -v1
	v_fma_f32 v8, 0.5, v5, v3
	v_fma_f32 v6, -v7, v0, v6
	v_fma_f32 v3, v5, 0.5, -v3
	v_fmac_f32_e32 v8, v7, v2
	v_fma_f32 v1, -v7, v0, v1
	v_fma_f32 v0, -v7, v2, v3
	ds_write2_b32 v30, v8, v6 offset1:1
	ds_write_b64 v4, v[0:1] offset:11664
	ds_read_b64 v[0:1], v29 offset:5832
	ds_read_b64 v[2:3], v4 offset:9720
	v_add_u32_e32 v5, 0x1400, v29
	s_waitcnt lgkmcnt(0)
	v_add_f32_e32 v6, v0, v2
	v_sub_f32_e32 v0, v0, v2
	v_add_f32_e32 v7, v1, v3
	v_sub_f32_e32 v1, v1, v3
	v_mul_f32_e32 v0, 0.5, v0
	v_mul_f32_e32 v2, 0.5, v7
	;; [unrolled: 1-line block ×3, first 2 shown]
	s_waitcnt vmcnt(0)
	v_mul_f32_e32 v3, v16, v0
	v_fma_f32 v7, v2, v16, v1
	v_fma_f32 v8, 0.5, v6, v3
	v_fma_f32 v1, v2, v16, -v1
	v_fma_f32 v7, -v15, v0, v7
	v_fma_f32 v3, v6, 0.5, -v3
	v_fmac_f32_e32 v8, v15, v2
	v_fma_f32 v1, -v15, v0, v1
	v_fma_f32 v0, -v15, v2, v3
	ds_write2_b32 v5, v8, v7 offset0:178 offset1:179
	ds_write_b64 v4, v[0:1] offset:9720
	s_waitcnt lgkmcnt(0)
	s_barrier
	s_and_saveexec_b64 s[2:3], s[0:1]
	s_cbranch_execz .LBB0_38
; %bb.36:
	v_mul_lo_u32 v2, s5, v12
	v_mul_lo_u32 v3, s4, v13
	v_mad_u64_u32 v[0:1], s[0:1], s4, v12, 0
	v_mov_b32_e32 v6, s11
	v_lshl_add_u32 v8, v14, 3, 0
	v_add3_u32 v1, v1, v3, v2
	v_lshlrev_b64 v[0:1], 3, v[0:1]
	v_mov_b32_e32 v15, v17
	v_add_co_u32_e32 v0, vcc, s10, v0
	v_addc_co_u32_e32 v9, vcc, v6, v1, vcc
	v_lshlrev_b64 v[6:7], 3, v[10:11]
	ds_read2_b64 v[2:5], v8 offset1:243
	v_add_co_u32_e32 v1, vcc, v0, v6
	v_addc_co_u32_e32 v0, vcc, v9, v7, vcc
	v_lshlrev_b64 v[6:7], 3, v[14:15]
	v_add_u32_e32 v16, 0xf3, v14
	v_add_co_u32_e32 v6, vcc, v1, v6
	v_addc_co_u32_e32 v7, vcc, v0, v7, vcc
	s_waitcnt lgkmcnt(0)
	global_store_dwordx2 v[6:7], v[2:3], off
	v_lshlrev_b64 v[2:3], 3, v[16:17]
	v_add_u32_e32 v16, 0x1e6, v14
	v_add_co_u32_e32 v2, vcc, v1, v2
	v_addc_co_u32_e32 v3, vcc, v0, v3, vcc
	global_store_dwordx2 v[2:3], v[4:5], off
	v_add_u32_e32 v2, 0xf00, v8
	ds_read2_b64 v[2:5], v2 offset0:6 offset1:249
	v_lshlrev_b64 v[6:7], 3, v[16:17]
	v_add_u32_e32 v16, 0x2d9, v14
	v_add_co_u32_e32 v6, vcc, v1, v6
	v_addc_co_u32_e32 v7, vcc, v0, v7, vcc
	s_waitcnt lgkmcnt(0)
	global_store_dwordx2 v[6:7], v[2:3], off
	v_lshlrev_b64 v[2:3], 3, v[16:17]
	v_add_u32_e32 v16, 0x3cc, v14
	v_add_co_u32_e32 v2, vcc, v1, v2
	v_addc_co_u32_e32 v3, vcc, v0, v3, vcc
	global_store_dwordx2 v[2:3], v[4:5], off
	v_add_u32_e32 v2, 0x1e00, v8
	ds_read2_b64 v[2:5], v2 offset0:12 offset1:255
	;; [unrolled: 13-line block ×3, first 2 shown]
	v_lshlrev_b64 v[6:7], 3, v[16:17]
	v_add_u32_e32 v16, 0x6a5, v14
	v_add_co_u32_e32 v6, vcc, v1, v6
	v_addc_co_u32_e32 v7, vcc, v0, v7, vcc
	s_waitcnt lgkmcnt(0)
	global_store_dwordx2 v[6:7], v[2:3], off
	v_lshlrev_b64 v[2:3], 3, v[16:17]
	s_movk_i32 s0, 0xf2
	v_add_co_u32_e32 v2, vcc, v1, v2
	v_addc_co_u32_e32 v3, vcc, v0, v3, vcc
	v_cmp_eq_u32_e32 vcc, s0, v14
	global_store_dwordx2 v[2:3], v[4:5], off
	s_and_b64 exec, exec, vcc
	s_cbranch_execz .LBB0_38
; %bb.37:
	v_mov_b32_e32 v2, 0
	ds_read_b64 v[2:3], v2 offset:15552
	v_add_co_u32_e32 v4, vcc, 0x3000, v1
	v_addc_co_u32_e32 v5, vcc, 0, v0, vcc
	s_waitcnt lgkmcnt(0)
	global_store_dwordx2 v[4:5], v[2:3], off offset:3264
.LBB0_38:
	s_endpgm
	.section	.rodata,"a",@progbits
	.p2align	6, 0x0
	.amdhsa_kernel fft_rtc_back_len1944_factors_3_3_3_3_8_3_wgs_243_tpt_243_halfLds_sp_op_CI_CI_unitstride_sbrr_R2C_dirReg
		.amdhsa_group_segment_fixed_size 0
		.amdhsa_private_segment_fixed_size 0
		.amdhsa_kernarg_size 104
		.amdhsa_user_sgpr_count 6
		.amdhsa_user_sgpr_private_segment_buffer 1
		.amdhsa_user_sgpr_dispatch_ptr 0
		.amdhsa_user_sgpr_queue_ptr 0
		.amdhsa_user_sgpr_kernarg_segment_ptr 1
		.amdhsa_user_sgpr_dispatch_id 0
		.amdhsa_user_sgpr_flat_scratch_init 0
		.amdhsa_user_sgpr_private_segment_size 0
		.amdhsa_uses_dynamic_stack 0
		.amdhsa_system_sgpr_private_segment_wavefront_offset 0
		.amdhsa_system_sgpr_workgroup_id_x 1
		.amdhsa_system_sgpr_workgroup_id_y 0
		.amdhsa_system_sgpr_workgroup_id_z 0
		.amdhsa_system_sgpr_workgroup_info 0
		.amdhsa_system_vgpr_workitem_id 0
		.amdhsa_next_free_vgpr 48
		.amdhsa_next_free_sgpr 28
		.amdhsa_reserve_vcc 1
		.amdhsa_reserve_flat_scratch 0
		.amdhsa_float_round_mode_32 0
		.amdhsa_float_round_mode_16_64 0
		.amdhsa_float_denorm_mode_32 3
		.amdhsa_float_denorm_mode_16_64 3
		.amdhsa_dx10_clamp 1
		.amdhsa_ieee_mode 1
		.amdhsa_fp16_overflow 0
		.amdhsa_exception_fp_ieee_invalid_op 0
		.amdhsa_exception_fp_denorm_src 0
		.amdhsa_exception_fp_ieee_div_zero 0
		.amdhsa_exception_fp_ieee_overflow 0
		.amdhsa_exception_fp_ieee_underflow 0
		.amdhsa_exception_fp_ieee_inexact 0
		.amdhsa_exception_int_div_zero 0
	.end_amdhsa_kernel
	.text
.Lfunc_end0:
	.size	fft_rtc_back_len1944_factors_3_3_3_3_8_3_wgs_243_tpt_243_halfLds_sp_op_CI_CI_unitstride_sbrr_R2C_dirReg, .Lfunc_end0-fft_rtc_back_len1944_factors_3_3_3_3_8_3_wgs_243_tpt_243_halfLds_sp_op_CI_CI_unitstride_sbrr_R2C_dirReg
                                        ; -- End function
	.section	.AMDGPU.csdata,"",@progbits
; Kernel info:
; codeLenInByte = 6896
; NumSgprs: 32
; NumVgprs: 48
; ScratchSize: 0
; MemoryBound: 0
; FloatMode: 240
; IeeeMode: 1
; LDSByteSize: 0 bytes/workgroup (compile time only)
; SGPRBlocks: 3
; VGPRBlocks: 11
; NumSGPRsForWavesPerEU: 32
; NumVGPRsForWavesPerEU: 48
; Occupancy: 5
; WaveLimiterHint : 1
; COMPUTE_PGM_RSRC2:SCRATCH_EN: 0
; COMPUTE_PGM_RSRC2:USER_SGPR: 6
; COMPUTE_PGM_RSRC2:TRAP_HANDLER: 0
; COMPUTE_PGM_RSRC2:TGID_X_EN: 1
; COMPUTE_PGM_RSRC2:TGID_Y_EN: 0
; COMPUTE_PGM_RSRC2:TGID_Z_EN: 0
; COMPUTE_PGM_RSRC2:TIDIG_COMP_CNT: 0
	.type	__hip_cuid_7b646fd2e29c9ec8,@object ; @__hip_cuid_7b646fd2e29c9ec8
	.section	.bss,"aw",@nobits
	.globl	__hip_cuid_7b646fd2e29c9ec8
__hip_cuid_7b646fd2e29c9ec8:
	.byte	0                               ; 0x0
	.size	__hip_cuid_7b646fd2e29c9ec8, 1

	.ident	"AMD clang version 19.0.0git (https://github.com/RadeonOpenCompute/llvm-project roc-6.4.0 25133 c7fe45cf4b819c5991fe208aaa96edf142730f1d)"
	.section	".note.GNU-stack","",@progbits
	.addrsig
	.addrsig_sym __hip_cuid_7b646fd2e29c9ec8
	.amdgpu_metadata
---
amdhsa.kernels:
  - .args:
      - .actual_access:  read_only
        .address_space:  global
        .offset:         0
        .size:           8
        .value_kind:     global_buffer
      - .offset:         8
        .size:           8
        .value_kind:     by_value
      - .actual_access:  read_only
        .address_space:  global
        .offset:         16
        .size:           8
        .value_kind:     global_buffer
      - .actual_access:  read_only
        .address_space:  global
        .offset:         24
        .size:           8
        .value_kind:     global_buffer
      - .actual_access:  read_only
        .address_space:  global
        .offset:         32
        .size:           8
        .value_kind:     global_buffer
      - .offset:         40
        .size:           8
        .value_kind:     by_value
      - .actual_access:  read_only
        .address_space:  global
        .offset:         48
        .size:           8
        .value_kind:     global_buffer
      - .actual_access:  read_only
        .address_space:  global
        .offset:         56
        .size:           8
        .value_kind:     global_buffer
      - .offset:         64
        .size:           4
        .value_kind:     by_value
      - .actual_access:  read_only
        .address_space:  global
        .offset:         72
        .size:           8
        .value_kind:     global_buffer
      - .actual_access:  read_only
        .address_space:  global
        .offset:         80
        .size:           8
        .value_kind:     global_buffer
      - .actual_access:  read_only
        .address_space:  global
        .offset:         88
        .size:           8
        .value_kind:     global_buffer
      - .actual_access:  write_only
        .address_space:  global
        .offset:         96
        .size:           8
        .value_kind:     global_buffer
    .group_segment_fixed_size: 0
    .kernarg_segment_align: 8
    .kernarg_segment_size: 104
    .language:       OpenCL C
    .language_version:
      - 2
      - 0
    .max_flat_workgroup_size: 243
    .name:           fft_rtc_back_len1944_factors_3_3_3_3_8_3_wgs_243_tpt_243_halfLds_sp_op_CI_CI_unitstride_sbrr_R2C_dirReg
    .private_segment_fixed_size: 0
    .sgpr_count:     32
    .sgpr_spill_count: 0
    .symbol:         fft_rtc_back_len1944_factors_3_3_3_3_8_3_wgs_243_tpt_243_halfLds_sp_op_CI_CI_unitstride_sbrr_R2C_dirReg.kd
    .uniform_work_group_size: 1
    .uses_dynamic_stack: false
    .vgpr_count:     48
    .vgpr_spill_count: 0
    .wavefront_size: 64
amdhsa.target:   amdgcn-amd-amdhsa--gfx906
amdhsa.version:
  - 1
  - 2
...

	.end_amdgpu_metadata
